;; amdgpu-corpus repo=ROCm/rocFFT kind=compiled arch=gfx1030 opt=O3
	.text
	.amdgcn_target "amdgcn-amd-amdhsa--gfx1030"
	.amdhsa_code_object_version 6
	.protected	fft_rtc_fwd_len832_factors_13_2_2_2_2_2_2_wgs_104_tpt_104_halfLds_sp_ip_CI_unitstride_sbrr_R2C_dirReg ; -- Begin function fft_rtc_fwd_len832_factors_13_2_2_2_2_2_2_wgs_104_tpt_104_halfLds_sp_ip_CI_unitstride_sbrr_R2C_dirReg
	.globl	fft_rtc_fwd_len832_factors_13_2_2_2_2_2_2_wgs_104_tpt_104_halfLds_sp_ip_CI_unitstride_sbrr_R2C_dirReg
	.p2align	8
	.type	fft_rtc_fwd_len832_factors_13_2_2_2_2_2_2_wgs_104_tpt_104_halfLds_sp_ip_CI_unitstride_sbrr_R2C_dirReg,@function
fft_rtc_fwd_len832_factors_13_2_2_2_2_2_2_wgs_104_tpt_104_halfLds_sp_ip_CI_unitstride_sbrr_R2C_dirReg: ; @fft_rtc_fwd_len832_factors_13_2_2_2_2_2_2_wgs_104_tpt_104_halfLds_sp_ip_CI_unitstride_sbrr_R2C_dirReg
; %bb.0:
	s_clause 0x2
	s_load_dwordx4 s[8:11], s[4:5], 0x0
	s_load_dwordx2 s[2:3], s[4:5], 0x50
	s_load_dwordx2 s[12:13], s[4:5], 0x18
	v_mul_u32_u24_e32 v1, 0x277, v0
	v_mov_b32_e32 v3, 0
	v_add_nc_u32_sdwa v5, s6, v1 dst_sel:DWORD dst_unused:UNUSED_PAD src0_sel:DWORD src1_sel:WORD_1
	v_mov_b32_e32 v1, 0
	v_mov_b32_e32 v6, v3
	v_mov_b32_e32 v2, 0
	s_waitcnt lgkmcnt(0)
	v_cmp_lt_u64_e64 s0, s[10:11], 2
	s_and_b32 vcc_lo, exec_lo, s0
	s_cbranch_vccnz .LBB0_8
; %bb.1:
	s_load_dwordx2 s[0:1], s[4:5], 0x10
	v_mov_b32_e32 v1, 0
	s_add_u32 s6, s12, 8
	v_mov_b32_e32 v2, 0
	s_addc_u32 s7, s13, 0
	s_mov_b64 s[16:17], 1
	s_waitcnt lgkmcnt(0)
	s_add_u32 s14, s0, 8
	s_addc_u32 s15, s1, 0
.LBB0_2:                                ; =>This Inner Loop Header: Depth=1
	s_load_dwordx2 s[18:19], s[14:15], 0x0
                                        ; implicit-def: $vgpr7_vgpr8
	s_mov_b32 s0, exec_lo
	s_waitcnt lgkmcnt(0)
	v_or_b32_e32 v4, s19, v6
	v_cmpx_ne_u64_e32 0, v[3:4]
	s_xor_b32 s1, exec_lo, s0
	s_cbranch_execz .LBB0_4
; %bb.3:                                ;   in Loop: Header=BB0_2 Depth=1
	v_cvt_f32_u32_e32 v4, s18
	v_cvt_f32_u32_e32 v7, s19
	s_sub_u32 s0, 0, s18
	s_subb_u32 s20, 0, s19
	v_fmac_f32_e32 v4, 0x4f800000, v7
	v_rcp_f32_e32 v4, v4
	v_mul_f32_e32 v4, 0x5f7ffffc, v4
	v_mul_f32_e32 v7, 0x2f800000, v4
	v_trunc_f32_e32 v7, v7
	v_fmac_f32_e32 v4, 0xcf800000, v7
	v_cvt_u32_f32_e32 v7, v7
	v_cvt_u32_f32_e32 v4, v4
	v_mul_lo_u32 v8, s0, v7
	v_mul_hi_u32 v9, s0, v4
	v_mul_lo_u32 v10, s20, v4
	v_add_nc_u32_e32 v8, v9, v8
	v_mul_lo_u32 v9, s0, v4
	v_add_nc_u32_e32 v8, v8, v10
	v_mul_hi_u32 v10, v4, v9
	v_mul_lo_u32 v11, v4, v8
	v_mul_hi_u32 v12, v4, v8
	v_mul_hi_u32 v13, v7, v9
	v_mul_lo_u32 v9, v7, v9
	v_mul_hi_u32 v14, v7, v8
	v_mul_lo_u32 v8, v7, v8
	v_add_co_u32 v10, vcc_lo, v10, v11
	v_add_co_ci_u32_e32 v11, vcc_lo, 0, v12, vcc_lo
	v_add_co_u32 v9, vcc_lo, v10, v9
	v_add_co_ci_u32_e32 v9, vcc_lo, v11, v13, vcc_lo
	v_add_co_ci_u32_e32 v10, vcc_lo, 0, v14, vcc_lo
	v_add_co_u32 v8, vcc_lo, v9, v8
	v_add_co_ci_u32_e32 v9, vcc_lo, 0, v10, vcc_lo
	v_add_co_u32 v4, vcc_lo, v4, v8
	v_add_co_ci_u32_e32 v7, vcc_lo, v7, v9, vcc_lo
	v_mul_hi_u32 v8, s0, v4
	v_mul_lo_u32 v10, s20, v4
	v_mul_lo_u32 v9, s0, v7
	v_add_nc_u32_e32 v8, v8, v9
	v_mul_lo_u32 v9, s0, v4
	v_add_nc_u32_e32 v8, v8, v10
	v_mul_hi_u32 v10, v4, v9
	v_mul_lo_u32 v11, v4, v8
	v_mul_hi_u32 v12, v4, v8
	v_mul_hi_u32 v13, v7, v9
	v_mul_lo_u32 v9, v7, v9
	v_mul_hi_u32 v14, v7, v8
	v_mul_lo_u32 v8, v7, v8
	v_add_co_u32 v10, vcc_lo, v10, v11
	v_add_co_ci_u32_e32 v11, vcc_lo, 0, v12, vcc_lo
	v_add_co_u32 v9, vcc_lo, v10, v9
	v_add_co_ci_u32_e32 v9, vcc_lo, v11, v13, vcc_lo
	v_add_co_ci_u32_e32 v10, vcc_lo, 0, v14, vcc_lo
	v_add_co_u32 v8, vcc_lo, v9, v8
	v_add_co_ci_u32_e32 v9, vcc_lo, 0, v10, vcc_lo
	v_add_co_u32 v4, vcc_lo, v4, v8
	v_add_co_ci_u32_e32 v11, vcc_lo, v7, v9, vcc_lo
	v_mul_hi_u32 v13, v5, v4
	v_mad_u64_u32 v[9:10], null, v6, v4, 0
	v_mad_u64_u32 v[7:8], null, v5, v11, 0
	;; [unrolled: 1-line block ×3, first 2 shown]
	v_add_co_u32 v4, vcc_lo, v13, v7
	v_add_co_ci_u32_e32 v7, vcc_lo, 0, v8, vcc_lo
	v_add_co_u32 v4, vcc_lo, v4, v9
	v_add_co_ci_u32_e32 v4, vcc_lo, v7, v10, vcc_lo
	v_add_co_ci_u32_e32 v7, vcc_lo, 0, v12, vcc_lo
	v_add_co_u32 v4, vcc_lo, v4, v11
	v_add_co_ci_u32_e32 v9, vcc_lo, 0, v7, vcc_lo
	v_mul_lo_u32 v10, s19, v4
	v_mad_u64_u32 v[7:8], null, s18, v4, 0
	v_mul_lo_u32 v11, s18, v9
	v_sub_co_u32 v7, vcc_lo, v5, v7
	v_add3_u32 v8, v8, v11, v10
	v_sub_nc_u32_e32 v10, v6, v8
	v_subrev_co_ci_u32_e64 v10, s0, s19, v10, vcc_lo
	v_add_co_u32 v11, s0, v4, 2
	v_add_co_ci_u32_e64 v12, s0, 0, v9, s0
	v_sub_co_u32 v13, s0, v7, s18
	v_sub_co_ci_u32_e32 v8, vcc_lo, v6, v8, vcc_lo
	v_subrev_co_ci_u32_e64 v10, s0, 0, v10, s0
	v_cmp_le_u32_e32 vcc_lo, s18, v13
	v_cmp_eq_u32_e64 s0, s19, v8
	v_cndmask_b32_e64 v13, 0, -1, vcc_lo
	v_cmp_le_u32_e32 vcc_lo, s19, v10
	v_cndmask_b32_e64 v14, 0, -1, vcc_lo
	v_cmp_le_u32_e32 vcc_lo, s18, v7
	;; [unrolled: 2-line block ×3, first 2 shown]
	v_cndmask_b32_e64 v15, 0, -1, vcc_lo
	v_cmp_eq_u32_e32 vcc_lo, s19, v10
	v_cndmask_b32_e64 v7, v15, v7, s0
	v_cndmask_b32_e32 v10, v14, v13, vcc_lo
	v_add_co_u32 v13, vcc_lo, v4, 1
	v_add_co_ci_u32_e32 v14, vcc_lo, 0, v9, vcc_lo
	v_cmp_ne_u32_e32 vcc_lo, 0, v10
	v_cndmask_b32_e32 v8, v14, v12, vcc_lo
	v_cndmask_b32_e32 v10, v13, v11, vcc_lo
	v_cmp_ne_u32_e32 vcc_lo, 0, v7
	v_cndmask_b32_e32 v8, v9, v8, vcc_lo
	v_cndmask_b32_e32 v7, v4, v10, vcc_lo
.LBB0_4:                                ;   in Loop: Header=BB0_2 Depth=1
	s_andn2_saveexec_b32 s0, s1
	s_cbranch_execz .LBB0_6
; %bb.5:                                ;   in Loop: Header=BB0_2 Depth=1
	v_cvt_f32_u32_e32 v4, s18
	s_sub_i32 s1, 0, s18
	v_rcp_iflag_f32_e32 v4, v4
	v_mul_f32_e32 v4, 0x4f7ffffe, v4
	v_cvt_u32_f32_e32 v4, v4
	v_mul_lo_u32 v7, s1, v4
	v_mul_hi_u32 v7, v4, v7
	v_add_nc_u32_e32 v4, v4, v7
	v_mul_hi_u32 v4, v5, v4
	v_mul_lo_u32 v7, v4, s18
	v_add_nc_u32_e32 v8, 1, v4
	v_sub_nc_u32_e32 v7, v5, v7
	v_subrev_nc_u32_e32 v9, s18, v7
	v_cmp_le_u32_e32 vcc_lo, s18, v7
	v_cndmask_b32_e32 v7, v7, v9, vcc_lo
	v_cndmask_b32_e32 v4, v4, v8, vcc_lo
	v_cmp_le_u32_e32 vcc_lo, s18, v7
	v_add_nc_u32_e32 v8, 1, v4
	v_cndmask_b32_e32 v7, v4, v8, vcc_lo
	v_mov_b32_e32 v8, v3
.LBB0_6:                                ;   in Loop: Header=BB0_2 Depth=1
	s_or_b32 exec_lo, exec_lo, s0
	s_load_dwordx2 s[0:1], s[6:7], 0x0
	v_mul_lo_u32 v4, v8, s18
	v_mul_lo_u32 v11, v7, s19
	v_mad_u64_u32 v[9:10], null, v7, s18, 0
	s_add_u32 s16, s16, 1
	s_addc_u32 s17, s17, 0
	s_add_u32 s6, s6, 8
	s_addc_u32 s7, s7, 0
	;; [unrolled: 2-line block ×3, first 2 shown]
	v_add3_u32 v4, v10, v11, v4
	v_sub_co_u32 v5, vcc_lo, v5, v9
	v_sub_co_ci_u32_e32 v4, vcc_lo, v6, v4, vcc_lo
	s_waitcnt lgkmcnt(0)
	v_mul_lo_u32 v6, s1, v5
	v_mul_lo_u32 v4, s0, v4
	v_mad_u64_u32 v[1:2], null, s0, v5, v[1:2]
	v_cmp_ge_u64_e64 s0, s[16:17], s[10:11]
	s_and_b32 vcc_lo, exec_lo, s0
	v_add3_u32 v2, v6, v2, v4
	s_cbranch_vccnz .LBB0_9
; %bb.7:                                ;   in Loop: Header=BB0_2 Depth=1
	v_mov_b32_e32 v5, v7
	v_mov_b32_e32 v6, v8
	s_branch .LBB0_2
.LBB0_8:
	v_mov_b32_e32 v8, v6
	v_mov_b32_e32 v7, v5
.LBB0_9:
	s_lshl_b64 s[0:1], s[10:11], 3
	v_mul_hi_u32 v3, 0x2762763, v0
	s_add_u32 s0, s12, s0
	s_addc_u32 s1, s13, s1
	s_load_dwordx2 s[0:1], s[0:1], 0x0
	s_load_dwordx2 s[4:5], s[4:5], 0x20
	v_mul_u32_u24_e32 v3, 0x68, v3
	v_sub_nc_u32_e32 v24, v0, v3
	v_lshl_add_u32 v30, v24, 3, 0
	s_waitcnt lgkmcnt(0)
	v_mul_lo_u32 v4, s0, v8
	v_mul_lo_u32 v5, s1, v7
	v_mad_u64_u32 v[1:2], null, s0, v7, v[1:2]
	v_cmp_gt_u64_e32 vcc_lo, s[4:5], v[7:8]
	v_add3_u32 v2, v5, v2, v4
	v_lshlrev_b64 v[26:27], 3, v[1:2]
	s_and_saveexec_b32 s1, vcc_lo
	s_cbranch_execz .LBB0_11
; %bb.10:
	v_mov_b32_e32 v25, 0
	v_add_co_u32 v2, s0, s2, v26
	v_add_co_ci_u32_e64 v3, s0, s3, v27, s0
	v_lshlrev_b64 v[0:1], 3, v[24:25]
	v_add_nc_u32_e32 v16, 0x400, v30
	v_add_nc_u32_e32 v17, 0xc00, v30
	;; [unrolled: 1-line block ×3, first 2 shown]
	v_add_co_u32 v0, s0, v2, v0
	v_add_co_ci_u32_e64 v1, s0, v3, v1, s0
	v_add_co_u32 v2, s0, 0x800, v0
	v_add_co_ci_u32_e64 v3, s0, 0, v1, s0
	;; [unrolled: 2-line block ×3, first 2 shown]
	s_clause 0x7
	global_load_dwordx2 v[6:7], v[0:1], off
	global_load_dwordx2 v[8:9], v[0:1], off offset:832
	global_load_dwordx2 v[0:1], v[0:1], off offset:1664
	;; [unrolled: 1-line block ×7, first 2 shown]
	s_waitcnt vmcnt(6)
	ds_write2_b64 v30, v[6:7], v[8:9] offset1:104
	s_waitcnt vmcnt(4)
	ds_write2_b64 v16, v[0:1], v[10:11] offset0:80 offset1:184
	s_waitcnt vmcnt(2)
	ds_write2_b64 v17, v[2:3], v[12:13] offset0:32 offset1:136
	;; [unrolled: 2-line block ×3, first 2 shown]
.LBB0_11:
	s_or_b32 exec_lo, exec_lo, s1
	s_waitcnt lgkmcnt(0)
	s_barrier
	buffer_gl0_inv
	ds_read2st64_b64 v[0:3], v30 offset1:1
	ds_read2st64_b64 v[20:23], v30 offset0:2 offset1:3
	ds_read2st64_b64 v[16:19], v30 offset0:4 offset1:5
	;; [unrolled: 1-line block ×5, first 2 shown]
	ds_read_b64 v[28:29], v30 offset:6144
	s_mov_b32 s1, exec_lo
	s_waitcnt lgkmcnt(0)
	s_barrier
	buffer_gl0_inv
	v_cmpx_gt_u32_e32 64, v24
	s_cbranch_execz .LBB0_13
; %bb.12:
	v_sub_f32_e32 v49, v2, v28
	v_add_f32_e32 v34, v29, v3
	v_sub_f32_e32 v48, v20, v6
	v_add_f32_e32 v33, v7, v21
	v_sub_f32_e32 v47, v22, v4
	v_mul_f32_e32 v42, 0xbe750f2a, v49
	v_add_f32_e32 v32, v5, v23
	v_mul_f32_e32 v37, 0x3eedf032, v48
	v_sub_f32_e32 v46, v16, v10
	v_mul_f32_e32 v38, 0xbf29c268, v47
	v_fmamk_f32 v35, v34, 0xbf788fa5, v42
	v_sub_f32_e32 v50, v3, v29
	v_fmamk_f32 v36, v33, 0x3f62ad3f, v37
	v_add_f32_e32 v25, v11, v17
	v_mul_f32_e32 v40, 0x3f52af12, v46
	v_add_f32_e32 v39, v1, v35
	v_add_f32_e32 v35, v28, v2
	;; [unrolled: 1-line block ×3, first 2 shown]
	v_fmamk_f32 v44, v32, 0xbf3f9e67, v38
	v_mul_f32_e32 v43, 0xbe750f2a, v50
	v_add_f32_e32 v36, v36, v39
	v_sub_f32_e32 v51, v21, v7
	v_add_f32_e32 v3, v1, v3
	v_add_f32_e32 v2, v2, v20
	v_fmamk_f32 v39, v25, 0x3f116cb1, v40
	v_add_f32_e32 v52, v44, v36
	v_fma_f32 v53, 0xbf788fa5, v35, -v43
	v_add_f32_e32 v36, v6, v20
	v_mul_f32_e32 v44, 0x3eedf032, v51
	v_add_f32_e32 v3, v3, v21
	v_add_f32_e32 v2, v2, v22
	;; [unrolled: 1-line block ×4, first 2 shown]
	v_sub_f32_e32 v52, v23, v5
	v_fma_f32 v56, 0x3f62ad3f, v36, -v44
	v_add_f32_e32 v3, v3, v23
	v_add_f32_e32 v2, v2, v16
	v_sub_f32_e32 v45, v18, v8
	v_add_f32_e32 v39, v4, v22
	v_mul_f32_e32 v57, 0xbf29c268, v52
	v_add_f32_e32 v21, v56, v53
	v_sub_f32_e32 v53, v17, v11
	v_add_f32_e32 v3, v3, v17
	v_add_f32_e32 v2, v2, v18
	;; [unrolled: 1-line block ×3, first 2 shown]
	v_mul_f32_e32 v41, 0xbf6f5d39, v45
	v_fma_f32 v56, 0xbf3f9e67, v39, -v57
	v_add_f32_e32 v20, v10, v16
	v_mul_f32_e32 v22, 0x3f52af12, v53
	v_add_f32_e32 v3, v3, v19
	v_add_f32_e32 v2, v2, v12
	v_fmamk_f32 v54, v31, 0xbeb58ec6, v41
	v_sub_f32_e32 v23, v12, v14
	v_add_f32_e32 v16, v56, v21
	v_fma_f32 v17, 0x3f116cb1, v20, -v22
	v_sub_f32_e32 v19, v19, v9
	v_add_f32_e32 v3, v3, v13
	v_add_f32_e32 v2, v2, v14
	;; [unrolled: 1-line block ×3, first 2 shown]
	v_mul_f32_e32 v54, 0x3f7e222b, v23
	v_add_f32_e32 v55, v17, v16
	v_add_f32_e32 v16, v15, v13
	;; [unrolled: 1-line block ×3, first 2 shown]
	v_mul_f32_e32 v56, 0xbf6f5d39, v19
	v_add_f32_e32 v3, v3, v15
	v_sub_f32_e32 v15, v13, v15
	v_mul_f32_e32 v58, 0xbf29c268, v49
	v_add_f32_e32 v2, v2, v8
	v_add_f32_e32 v12, v14, v12
	;; [unrolled: 1-line block ×3, first 2 shown]
	v_fma_f32 v8, 0xbeb58ec6, v17, -v56
	v_mul_f32_e32 v59, 0x3f7e222b, v15
	v_fmamk_f32 v9, v34, 0xbf3f9e67, v58
	v_add_f32_e32 v10, v2, v10
	v_mul_f32_e32 v60, 0x3f7e222b, v48
	v_fmamk_f32 v2, v16, 0x3df6dbef, v54
	v_add_f32_e32 v11, v3, v11
	v_add_f32_e32 v8, v8, v55
	v_fma_f32 v13, 0x3df6dbef, v12, -v59
	v_add_f32_e32 v9, v1, v9
	v_fmamk_f32 v14, v33, 0x3df6dbef, v60
	v_mul_f32_e32 v55, 0xbf52af12, v47
	v_add_f32_e32 v3, v2, v21
	v_mul_f32_e32 v21, 0xbf29c268, v50
	v_add_f32_e32 v2, v13, v8
	v_add_f32_e32 v8, v14, v9
	v_fmamk_f32 v9, v32, 0x3f116cb1, v55
	v_add_f32_e32 v5, v11, v5
	v_fma_f32 v11, 0xbf3f9e67, v35, -v21
	v_mul_f32_e32 v61, 0x3f7e222b, v51
	v_add_f32_e32 v4, v10, v4
	v_mul_f32_e32 v62, 0x3e750f2a, v46
	v_add_f32_e32 v8, v9, v8
	v_add_f32_e32 v9, v0, v11
	v_fma_f32 v10, 0x3df6dbef, v36, -v61
	v_mul_f32_e32 v63, 0xbf52af12, v52
	v_add_f32_e32 v5, v5, v7
	v_add_f32_e32 v4, v4, v6
	v_fmamk_f32 v6, v25, 0xbf788fa5, v62
	v_add_f32_e32 v7, v10, v9
	v_fma_f32 v9, 0x3f116cb1, v39, -v63
	v_mul_f32_e32 v64, 0x3e750f2a, v53
	v_mul_f32_e32 v65, 0x3eedf032, v45
	v_add_f32_e32 v5, v5, v29
	v_add_f32_e32 v4, v4, v28
	;; [unrolled: 1-line block ×3, first 2 shown]
	v_fma_f32 v9, 0xbf788fa5, v20, -v64
	v_mul_f32_e32 v28, 0x3eedf032, v19
	v_add_f32_e32 v6, v6, v8
	v_fmamk_f32 v8, v31, 0x3f62ad3f, v65
	v_mul_f32_e32 v29, 0xbf6f5d39, v23
	v_add_f32_e32 v7, v9, v7
	v_fma_f32 v9, 0x3f62ad3f, v17, -v28
	v_mul_f32_e32 v66, 0xbf6f5d39, v49
	v_add_f32_e32 v6, v8, v6
	v_fmamk_f32 v8, v16, 0xbeb58ec6, v29
	v_mul_f32_e32 v67, 0xbf6f5d39, v15
	v_add_f32_e32 v9, v9, v7
	v_fmamk_f32 v10, v34, 0xbeb58ec6, v66
	v_mul_f32_e32 v68, 0x3f29c268, v48
	v_add_f32_e32 v7, v8, v6
	v_fma_f32 v6, 0xbeb58ec6, v12, -v67
	v_mul_f32_e32 v69, 0xbf6f5d39, v50
	v_add_f32_e32 v8, v1, v10
	v_fmamk_f32 v10, v33, 0xbf3f9e67, v68
	v_mul_f32_e32 v70, 0x3eedf032, v47
	v_add_f32_e32 v6, v6, v9
	v_fma_f32 v9, 0xbeb58ec6, v35, -v69
	;; [unrolled: 6-line block ×4, first 2 shown]
	v_mul_f32_e32 v75, 0xbf7e222b, v53
	v_mul_f32_e32 v76, 0xbf7e222b, v49
	v_mul_f32_e32 v80, 0xbf7e222b, v50
	v_add_f32_e32 v8, v10, v8
	v_fmamk_f32 v10, v31, 0xbf788fa5, v74
	v_add_f32_e32 v9, v11, v9
	v_fma_f32 v11, 0x3df6dbef, v20, -v75
	v_fmamk_f32 v13, v34, 0x3df6dbef, v76
	v_mul_f32_e32 v77, 0xbe750f2a, v48
	v_mul_f32_e32 v78, 0x3e750f2a, v19
	v_fma_f32 v14, 0x3df6dbef, v35, -v80
	v_mul_f32_e32 v83, 0xbe750f2a, v51
	v_add_f32_e32 v8, v10, v8
	v_add_f32_e32 v9, v11, v9
	;; [unrolled: 1-line block ×3, first 2 shown]
	v_fmamk_f32 v11, v33, 0xbf788fa5, v77
	v_mul_f32_e32 v79, 0x3f6f5d39, v47
	v_fma_f32 v13, 0xbf788fa5, v17, -v78
	v_mul_f32_e32 v81, 0x3f52af12, v23
	v_mul_f32_e32 v82, 0x3f52af12, v15
	v_add_f32_e32 v14, v0, v14
	v_fma_f32 v18, 0xbf788fa5, v36, -v83
	v_mul_f32_e32 v85, 0x3f6f5d39, v52
	v_add_f32_e32 v10, v11, v10
	v_fmamk_f32 v11, v32, 0xbeb58ec6, v79
	v_mul_f32_e32 v84, 0x3eedf032, v46
	v_add_f32_e32 v13, v13, v9
	v_fmamk_f32 v9, v16, 0x3f116cb1, v81
	v_fma_f32 v86, 0x3f116cb1, v12, -v82
	v_add_f32_e32 v14, v18, v14
	v_fma_f32 v18, 0xbeb58ec6, v39, -v85
	v_mul_f32_e32 v87, 0x3eedf032, v53
	v_add_f32_e32 v10, v11, v10
	v_fmamk_f32 v11, v25, 0x3f62ad3f, v84
	v_mul_f32_e32 v88, 0xbf52af12, v45
	v_add_f32_e32 v9, v9, v8
	v_add_f32_e32 v8, v86, v13
	;; [unrolled: 1-line block ×3, first 2 shown]
	v_fma_f32 v14, 0x3f62ad3f, v20, -v87
	v_mul_f32_e32 v86, 0xbf52af12, v19
	v_add_f32_e32 v10, v11, v10
	v_fmamk_f32 v11, v31, 0x3f116cb1, v88
	v_mul_f32_e32 v89, 0xbf29c268, v23
	v_add_f32_e32 v13, v14, v13
	v_fma_f32 v14, 0x3f116cb1, v17, -v86
	v_mul_f32_e32 v90, 0xbf29c268, v15
	v_mul_f32_e32 v91, 0xbf52af12, v49
	v_add_f32_e32 v10, v11, v10
	v_fmamk_f32 v11, v16, 0xbf3f9e67, v89
	v_add_f32_e32 v13, v14, v13
	v_fma_f32 v14, 0xbf3f9e67, v12, -v90
	v_mul_f32_e32 v92, 0xbf52af12, v50
	v_fmamk_f32 v18, v34, 0x3f116cb1, v91
	v_mul_f32_e32 v93, 0xbf6f5d39, v48
	v_add_f32_e32 v11, v11, v10
	v_add_f32_e32 v10, v14, v13
	v_fma_f32 v13, 0x3f116cb1, v35, -v92
	v_mul_f32_e32 v94, 0xbf6f5d39, v51
	v_add_f32_e32 v14, v1, v18
	v_fmamk_f32 v18, v33, 0xbeb58ec6, v93
	v_mul_f32_e32 v95, 0xbe750f2a, v47
	v_add_f32_e32 v13, v0, v13
	v_fma_f32 v96, 0xbeb58ec6, v36, -v94
	v_mul_f32_e32 v97, 0xbe750f2a, v52
	v_add_f32_e32 v14, v18, v14
	v_fmamk_f32 v18, v32, 0xbf788fa5, v95
	v_mul_f32_e32 v98, 0x3f29c268, v46
	;; [unrolled: 6-line block ×5, first 2 shown]
	v_add_f32_e32 v13, v96, v13
	v_fmamk_f32 v96, v34, 0x3f62ad3f, v49
	v_mul_f32_e32 v48, 0xbf52af12, v48
	v_add_f32_e32 v14, v18, v14
	v_fma_f32 v18, 0x3f62ad3f, v12, -v103
	v_mul_f32_e32 v50, 0xbeedf032, v50
	v_add_f32_e32 v96, v1, v96
	v_fmamk_f32 v104, v33, 0x3f116cb1, v48
	v_mul_f32_e32 v47, 0xbf7e222b, v47
	v_add_f32_e32 v13, v18, v13
	v_fma_f32 v18, 0x3f62ad3f, v35, -v50
	v_mul_f32_e32 v51, 0xbf52af12, v51
	;; [unrolled: 6-line block ×3, first 2 shown]
	v_add_f32_e32 v96, v104, v96
	v_fmamk_f32 v104, v25, 0xbeb58ec6, v46
	v_mul_f32_e32 v53, 0xbf6f5d39, v53
	v_add_f32_e32 v18, v105, v18
	v_fma_f32 v105, 0x3df6dbef, v39, -v52
	v_fma_f32 v42, 0xbf788fa5, v34, -v42
	v_mul_f32_e32 v45, 0xbf29c268, v45
	v_add_f32_e32 v96, v104, v96
	v_fma_f32 v104, 0xbeb58ec6, v20, -v53
	v_add_f32_e32 v18, v105, v18
	v_mul_f32_e32 v105, 0xbf29c268, v19
	v_fmac_f32_e32 v43, 0xbf788fa5, v35
	v_add_f32_e32 v42, v1, v42
	v_fma_f32 v37, 0x3f62ad3f, v33, -v37
	v_fmamk_f32 v19, v31, 0xbf3f9e67, v45
	v_add_f32_e32 v18, v104, v18
	v_fma_f32 v104, 0xbf3f9e67, v17, -v105
	v_mul_f32_e32 v23, 0xbe750f2a, v23
	v_add_f32_e32 v43, v0, v43
	v_fmac_f32_e32 v44, 0x3f62ad3f, v36
	v_add_f32_e32 v37, v37, v42
	v_fma_f32 v38, 0xbf3f9e67, v32, -v38
	v_mul_f32_e32 v15, 0xbe750f2a, v15
	v_add_f32_e32 v19, v19, v96
	v_add_f32_e32 v18, v104, v18
	v_fmamk_f32 v42, v16, 0xbf788fa5, v23
	v_add_f32_e32 v43, v44, v43
	v_fmac_f32_e32 v57, 0xbf3f9e67, v39
	v_add_f32_e32 v37, v38, v37
	v_fma_f32 v38, 0x3f116cb1, v25, -v40
	v_fma_f32 v40, 0xbf788fa5, v12, -v15
	v_add_f32_e32 v19, v42, v19
	v_add_f32_e32 v42, v57, v43
	v_fmac_f32_e32 v22, 0x3f116cb1, v20
	v_add_f32_e32 v37, v38, v37
	v_fma_f32 v38, 0xbeb58ec6, v31, -v41
	v_add_f32_e32 v18, v40, v18
	v_fma_f32 v40, 0xbf3f9e67, v34, -v58
	v_add_f32_e32 v22, v22, v42
	v_fmac_f32_e32 v56, 0xbeb58ec6, v17
	v_add_f32_e32 v37, v38, v37
	v_fmac_f32_e32 v21, 0xbf3f9e67, v35
	v_add_f32_e32 v38, v1, v40
	v_fma_f32 v40, 0x3df6dbef, v33, -v60
	v_add_f32_e32 v41, v56, v22
	v_fma_f32 v22, 0x3df6dbef, v16, -v54
	v_add_f32_e32 v21, v0, v21
	v_fmac_f32_e32 v61, 0x3df6dbef, v36
	v_add_f32_e32 v38, v40, v38
	v_fma_f32 v40, 0x3f116cb1, v32, -v55
	v_fmac_f32_e32 v59, 0x3df6dbef, v12
	v_add_f32_e32 v22, v22, v37
	v_add_f32_e32 v37, v61, v21
	v_fma_f32 v42, 0xbf3f9e67, v33, -v68
	v_add_f32_e32 v38, v40, v38
	v_fma_f32 v40, 0xbf788fa5, v25, -v62
	;; [unrolled: 2-line block ×3, first 2 shown]
	v_fma_f32 v29, 0xbeb58ec6, v16, -v29
	v_fmac_f32_e32 v63, 0x3f116cb1, v39
	v_add_f32_e32 v38, v40, v38
	v_fma_f32 v40, 0x3f62ad3f, v31, -v65
	v_add_f32_e32 v41, v1, v41
	v_fmac_f32_e32 v64, 0xbf788fa5, v20
	v_add_f32_e32 v37, v63, v37
	v_fmac_f32_e32 v80, 0x3df6dbef, v35
	v_add_f32_e32 v38, v40, v38
	v_add_f32_e32 v40, v42, v41
	v_fma_f32 v41, 0x3f62ad3f, v32, -v70
	v_fma_f32 v42, 0xbf788fa5, v33, -v77
	v_add_f32_e32 v37, v64, v37
	v_add_f32_e32 v29, v29, v38
	v_fma_f32 v38, 0x3df6dbef, v25, -v72
	v_add_f32_e32 v40, v41, v40
	v_fma_f32 v41, 0x3df6dbef, v34, -v76
	v_fmac_f32_e32 v28, 0x3f62ad3f, v17
	v_fmac_f32_e32 v69, 0xbeb58ec6, v35
	;; [unrolled: 1-line block ×3, first 2 shown]
	v_add_f32_e32 v38, v38, v40
	v_fma_f32 v40, 0xbf788fa5, v31, -v74
	v_add_f32_e32 v41, v1, v41
	v_fma_f32 v44, 0x3f116cb1, v34, -v91
	v_fmac_f32_e32 v92, 0x3f116cb1, v35
	v_fma_f32 v34, 0x3f62ad3f, v34, -v49
	v_add_f32_e32 v38, v40, v38
	v_add_f32_e32 v40, v42, v41
	v_fma_f32 v41, 0xbeb58ec6, v32, -v79
	v_add_f32_e32 v42, v0, v80
	v_fmac_f32_e32 v50, 0x3f62ad3f, v35
	v_add_f32_e32 v28, v28, v37
	v_add_f32_e32 v37, v0, v69
	v_fmac_f32_e32 v71, 0xbf3f9e67, v36
	v_add_f32_e32 v40, v41, v40
	v_add_f32_e32 v41, v83, v42
	v_fma_f32 v42, 0x3f62ad3f, v25, -v84
	v_add_f32_e32 v44, v1, v44
	v_fma_f32 v54, 0xbeb58ec6, v33, -v93
	v_add_f32_e32 v35, v0, v92
	v_fmac_f32_e32 v94, 0xbeb58ec6, v36
	v_add_f32_e32 v1, v1, v34
	v_fma_f32 v33, 0x3f116cb1, v33, -v48
	v_add_f32_e32 v0, v0, v50
	v_fmac_f32_e32 v51, 0x3f116cb1, v36
	v_add_f32_e32 v37, v71, v37
	v_fmac_f32_e32 v73, 0x3f62ad3f, v39
	v_fma_f32 v43, 0x3f116cb1, v16, -v81
	v_fmac_f32_e32 v85, 0xbeb58ec6, v39
	v_add_f32_e32 v40, v42, v40
	v_add_f32_e32 v42, v54, v44
	v_fma_f32 v44, 0xbf788fa5, v32, -v95
	v_add_f32_e32 v34, v94, v35
	v_fmac_f32_e32 v97, 0xbf788fa5, v39
	v_add_f32_e32 v1, v33, v1
	v_fma_f32 v32, 0x3df6dbef, v32, -v47
	v_add_f32_e32 v0, v51, v0
	v_fmac_f32_e32 v52, 0x3df6dbef, v39
	v_add_f32_e32 v37, v73, v37
	v_fmac_f32_e32 v75, 0x3df6dbef, v20
	;; [unrolled: 2-line block ×3, first 2 shown]
	v_add_f32_e32 v38, v43, v38
	v_add_f32_e32 v42, v44, v42
	v_fma_f32 v43, 0xbf3f9e67, v25, -v98
	v_add_f32_e32 v33, v97, v34
	v_fmac_f32_e32 v99, 0xbf3f9e67, v20
	v_add_f32_e32 v1, v32, v1
	v_fma_f32 v25, 0xbeb58ec6, v25, -v46
	v_add_f32_e32 v0, v52, v0
	v_fmac_f32_e32 v53, 0xbeb58ec6, v20
	v_add_f32_e32 v37, v75, v37
	v_fmac_f32_e32 v78, 0xbf788fa5, v17
	v_fma_f32 v54, 0x3f116cb1, v31, -v88
	v_add_f32_e32 v41, v87, v41
	v_fmac_f32_e32 v86, 0x3f116cb1, v17
	v_add_f32_e32 v42, v43, v42
	v_fma_f32 v43, 0x3df6dbef, v31, -v100
	v_add_f32_e32 v20, v99, v33
	v_fmac_f32_e32 v101, 0x3df6dbef, v17
	v_add_f32_e32 v1, v25, v1
	v_fma_f32 v25, 0xbf3f9e67, v31, -v45
	v_add_f32_e32 v0, v53, v0
	v_fmac_f32_e32 v105, 0xbf3f9e67, v17
	v_fmac_f32_e32 v67, 0xbeb58ec6, v12
	v_add_f32_e32 v37, v78, v37
	v_fmac_f32_e32 v82, 0x3f116cb1, v12
	v_add_f32_e32 v40, v54, v40
	v_add_f32_e32 v44, v86, v41
	v_fma_f32 v41, 0xbf3f9e67, v16, -v89
	v_fmac_f32_e32 v90, 0xbf3f9e67, v12
	v_add_f32_e32 v42, v43, v42
	v_fma_f32 v43, 0x3f62ad3f, v16, -v102
	v_add_f32_e32 v17, v101, v20
	v_fmac_f32_e32 v103, 0x3f62ad3f, v12
	v_add_f32_e32 v20, v25, v1
	v_fma_f32 v16, 0xbf788fa5, v16, -v23
	v_add_f32_e32 v23, v105, v0
	v_fmac_f32_e32 v15, 0xbf788fa5, v12
	v_mad_u32_u24 v12, 0x60, v24, v30
	v_add_f32_e32 v28, v67, v28
	v_add_f32_e32 v37, v82, v37
	v_add_f32_e32 v41, v41, v40
	v_add_f32_e32 v40, v90, v44
	v_add_f32_e32 v1, v43, v42
	v_add_f32_e32 v0, v103, v17
	v_add_f32_e32 v16, v16, v20
	v_add_f32_e32 v15, v15, v23
	ds_write2_b64 v12, v[4:5], v[18:19] offset1:1
	ds_write2_b64 v12, v[13:14], v[10:11] offset0:2 offset1:3
	ds_write2_b64 v12, v[8:9], v[6:7] offset0:4 offset1:5
	;; [unrolled: 1-line block ×5, first 2 shown]
	ds_write_b64 v12, v[15:16] offset:96
.LBB0_13:
	s_or_b32 exec_lo, exec_lo, s1
	v_and_b32_e32 v0, 0xff, v24
	v_add_nc_u16 v23, v24, 0x68
	v_add_nc_u32_e32 v6, 0xd0, v24
	v_mov_b32_e32 v1, 0x4ec5
	v_add_nc_u32_e32 v39, 0x138, v24
	v_mul_lo_u16 v25, 0x4f, v0
	v_and_b32_e32 v0, 0xff, v23
	v_mov_b32_e32 v5, 3
	v_mul_u32_u24_sdwa v40, v6, v1 dst_sel:DWORD dst_unused:UNUSED_PAD src0_sel:WORD_0 src1_sel:DWORD
	v_mul_u32_u24_sdwa v41, v39, v1 dst_sel:DWORD dst_unused:UNUSED_PAD src0_sel:WORD_0 src1_sel:DWORD
	v_lshrrev_b16 v35, 10, v25
	v_mul_lo_u16 v37, 0x4f, v0
	s_waitcnt lgkmcnt(0)
	v_lshrrev_b32_e32 v38, 18, v40
	v_lshrrev_b32_e32 v42, 18, v41
	v_mul_lo_u16 v0, v35, 13
	v_lshrrev_b16 v36, 10, v37
	s_barrier
	v_mul_lo_u16 v2, v38, 13
	v_mul_lo_u16 v3, v42, 13
	v_sub_nc_u16 v0, v24, v0
	v_mul_lo_u16 v1, v36, 13
	buffer_gl0_inv
	v_sub_nc_u16 v2, v6, v2
	v_sub_nc_u16 v3, v39, v3
	v_lshlrev_b32_sdwa v43, v5, v0 dst_sel:DWORD dst_unused:UNUSED_PAD src0_sel:DWORD src1_sel:BYTE_0
	v_sub_nc_u16 v4, v23, v1
	v_mul_u32_u24_e32 v38, 0xd0, v38
	v_lshlrev_b32_sdwa v45, v5, v2 dst_sel:DWORD dst_unused:UNUSED_PAD src0_sel:DWORD src1_sel:WORD_0
	v_lshlrev_b32_sdwa v46, v5, v3 dst_sel:DWORD dst_unused:UNUSED_PAD src0_sel:DWORD src1_sel:WORD_0
	global_load_dwordx2 v[0:1], v43, s[8:9]
	v_lshlrev_b32_sdwa v44, v5, v4 dst_sel:DWORD dst_unused:UNUSED_PAD src0_sel:DWORD src1_sel:BYTE_0
	v_add_nc_u32_e32 v4, 0xc00, v30
	v_add_nc_u32_e32 v2, 0x400, v30
	;; [unrolled: 1-line block ×3, first 2 shown]
	s_clause 0x2
	global_load_dwordx2 v[28:29], v44, s[8:9]
	global_load_dwordx2 v[31:32], v45, s[8:9]
	;; [unrolled: 1-line block ×3, first 2 shown]
	ds_read2_b64 v[7:10], v30 offset1:104
	ds_read2_b64 v[11:14], v4 offset0:32 offset1:136
	ds_read2_b64 v[15:18], v2 offset0:80 offset1:184
	;; [unrolled: 1-line block ×3, first 2 shown]
	v_mov_b32_e32 v47, 0xd0
	v_add3_u32 v38, 0, v38, v45
	v_lshrrev_b16 v25, 11, v25
	v_lshrrev_b32_e32 v49, 19, v41
	v_lshrrev_b16 v51, 11, v37
	v_mul_u32_u24_sdwa v36, v36, v47 dst_sel:DWORD dst_unused:UNUSED_PAD src0_sel:WORD_0 src1_sel:DWORD
	v_lshrrev_b32_e32 v48, 19, v40
	v_mul_lo_u16 v50, v25, 26
	v_mul_lo_u16 v53, v49, 26
	v_mul_lo_u16 v54, v51, 26
	v_add3_u32 v36, 0, v36, v44
	v_mul_lo_u16 v52, v48, 26
	v_mul_u32_u24_sdwa v35, v35, v47 dst_sel:DWORD dst_unused:UNUSED_PAD src0_sel:WORD_0 src1_sel:DWORD
	v_sub_nc_u16 v50, v24, v50
	v_mul_u32_u24_e32 v42, 0xd0, v42
	v_sub_nc_u16 v47, v39, v53
	v_sub_nc_u16 v53, v23, v54
	;; [unrolled: 1-line block ×3, first 2 shown]
	v_lshlrev_b32_sdwa v50, v5, v50 dst_sel:DWORD dst_unused:UNUSED_PAD src0_sel:DWORD src1_sel:BYTE_0
	v_add3_u32 v35, 0, v35, v43
	v_add3_u32 v42, 0, v42, v46
	v_lshlrev_b32_sdwa v43, v5, v53 dst_sel:DWORD dst_unused:UNUSED_PAD src0_sel:DWORD src1_sel:BYTE_0
	v_lshlrev_b32_sdwa v52, v5, v52 dst_sel:DWORD dst_unused:UNUSED_PAD src0_sel:DWORD src1_sel:WORD_0
	s_waitcnt vmcnt(0) lgkmcnt(0)
	s_barrier
	buffer_gl0_inv
	v_cmp_gt_u32_e64 s0, 52, v24
	s_add_u32 s1, s8, 0x1998
	s_addc_u32 s4, s9, 0
	s_mov_b32 s5, exec_lo
	v_mul_f32_e32 v45, v1, v12
	v_mul_f32_e32 v1, v1, v11
	v_fma_f32 v11, v0, v11, -v45
	v_fmac_f32_e32 v1, v0, v12
	v_mul_f32_e32 v0, v29, v14
	v_mul_f32_e32 v12, v29, v13
	;; [unrolled: 1-line block ×6, first 2 shown]
	v_fma_f32 v13, v28, v13, -v0
	v_fmac_f32_e32 v12, v28, v14
	v_fma_f32 v14, v31, v19, -v29
	v_fmac_f32_e32 v32, v31, v20
	;; [unrolled: 2-line block ×3, first 2 shown]
	v_sub_f32_e32 v0, v7, v11
	v_sub_f32_e32 v1, v8, v1
	;; [unrolled: 1-line block ×8, first 2 shown]
	v_fma_f32 v7, v7, 2.0, -v0
	v_fma_f32 v8, v8, 2.0, -v1
	;; [unrolled: 1-line block ×8, first 2 shown]
	ds_write2_b64 v35, v[7:8], v[0:1] offset1:13
	ds_write2_b64 v36, v[9:10], v[11:12] offset1:13
	ds_write2_b64 v38, v[15:16], v[13:14] offset1:13
	ds_write2_b64 v42, v[17:18], v[19:20] offset1:13
	s_waitcnt lgkmcnt(0)
	s_barrier
	buffer_gl0_inv
	global_load_dwordx2 v[0:1], v50, s[8:9] offset:104
	v_lshlrev_b32_sdwa v17, v5, v47 dst_sel:DWORD dst_unused:UNUSED_PAD src0_sel:DWORD src1_sel:WORD_0
	s_clause 0x2
	global_load_dwordx2 v[28:29], v43, s[8:9] offset:104
	global_load_dwordx2 v[31:32], v52, s[8:9] offset:104
	;; [unrolled: 1-line block ×3, first 2 shown]
	v_subrev_nc_u32_e32 v7, 52, v24
	v_lshrrev_b32_e32 v42, 20, v40
	v_mov_b32_e32 v36, 0
	v_mov_b32_e32 v18, 0x1a0
	v_lshrrev_b16 v45, 12, v37
	v_cndmask_b32_e64 v35, v7, v24, s0
	v_mul_lo_u16 v11, v42, 52
	ds_read2_b64 v[7:10], v4 offset0:32 offset1:136
	v_lshrrev_b32_e32 v44, 20, v41
	v_mul_u32_u24_sdwa v19, v25, v18 dst_sel:DWORD dst_unused:UNUSED_PAD src0_sel:WORD_0 src1_sel:DWORD
	v_lshlrev_b64 v[15:16], 3, v[35:36]
	v_mul_lo_u16 v25, v45, 52
	v_sub_nc_u16 v46, v6, v11
	ds_read2_b64 v[11:14], v3 offset0:112 offset1:216
	v_mul_u32_u24_e32 v20, 0x1a0, v48
	v_mul_u32_u24_e32 v21, 0x1a0, v49
	v_add_co_u32 v37, s0, s8, v15
	v_mul_lo_u16 v22, v44, 52
	v_add_co_ci_u32_e64 v38, s0, s9, v16, s0
	v_mul_u32_u24_sdwa v15, v51, v18 dst_sel:DWORD dst_unused:UNUSED_PAD src0_sel:WORD_0 src1_sel:DWORD
	v_sub_nc_u16 v16, v23, v25
	v_sub_nc_u16 v47, v39, v22
	v_lshlrev_b32_sdwa v23, v5, v46 dst_sel:DWORD dst_unused:UNUSED_PAD src0_sel:DWORD src1_sel:WORD_0
	v_add3_u32 v25, 0, v19, v50
	v_add3_u32 v46, 0, v20, v52
	;; [unrolled: 1-line block ×3, first 2 shown]
	v_lshlrev_b32_sdwa v49, v5, v16 dst_sel:DWORD dst_unused:UNUSED_PAD src0_sel:DWORD src1_sel:BYTE_0
	v_add3_u32 v43, 0, v15, v43
	ds_read2_b64 v[15:18], v30 offset1:104
	ds_read2_b64 v[19:22], v2 offset0:80 offset1:184
	s_waitcnt vmcnt(0) lgkmcnt(0)
	s_barrier
	buffer_gl0_inv
	v_cmp_lt_u32_e64 s0, 51, v24
	v_mul_f32_e32 v50, v1, v8
	v_mul_f32_e32 v1, v1, v7
	;; [unrolled: 1-line block ×8, first 2 shown]
	v_fma_f32 v7, v0, v7, -v50
	v_fmac_f32_e32 v1, v0, v8
	v_fma_f32 v8, v28, v9, -v51
	v_fmac_f32_e32 v29, v28, v10
	;; [unrolled: 2-line block ×4, first 2 shown]
	v_sub_f32_e32 v0, v15, v7
	v_sub_f32_e32 v1, v16, v1
	;; [unrolled: 1-line block ×8, first 2 shown]
	v_fma_f32 v13, v15, 2.0, -v0
	v_fma_f32 v14, v16, 2.0, -v1
	;; [unrolled: 1-line block ×8, first 2 shown]
	ds_write2_b64 v25, v[13:14], v[0:1] offset1:26
	ds_write2_b64 v43, v[15:16], v[7:8] offset1:26
	;; [unrolled: 1-line block ×4, first 2 shown]
	s_waitcnt lgkmcnt(0)
	s_barrier
	buffer_gl0_inv
	global_load_dwordx2 v[28:29], v[37:38], off offset:312
	v_lshlrev_b32_sdwa v15, v5, v47 dst_sel:DWORD dst_unused:UNUSED_PAD src0_sel:DWORD src1_sel:WORD_0
	s_clause 0x2
	global_load_dwordx2 v[31:32], v49, s[8:9] offset:312
	global_load_dwordx2 v[33:34], v23, s[8:9] offset:312
	;; [unrolled: 1-line block ×3, first 2 shown]
	v_mov_b32_e32 v25, v36
	v_cndmask_b32_e64 v7, 0, 0x340, s0
	v_lshlrev_b32_e32 v8, 3, v35
	v_lshrrev_b32_e32 v9, 21, v40
	v_lshrrev_b32_e32 v11, 21, v41
	v_lshlrev_b64 v[0:1], 3, v[24:25]
	v_mov_b32_e32 v16, 0x340
	v_add3_u32 v25, 0, v7, v8
	v_mul_lo_u16 v17, 0x68, v9
	ds_read2_b64 v[7:10], v4 offset0:32 offset1:136
	v_mul_lo_u16 v20, 0x68, v11
	ds_read2_b64 v[11:14], v3 offset0:112 offset1:216
	v_mul_u32_u24_e32 v18, 0x340, v42
	v_mul_u32_u24_e32 v19, 0x340, v44
	v_mul_u32_u24_sdwa v16, v45, v16 dst_sel:DWORD dst_unused:UNUSED_PAD src0_sel:WORD_0 src1_sel:DWORD
	v_sub_nc_u16 v6, v6, v17
	v_sub_nc_u16 v39, v39, v20
	v_add3_u32 v23, 0, v18, v23
	v_add3_u32 v41, 0, v19, v15
	;; [unrolled: 1-line block ×3, first 2 shown]
	ds_read2_b64 v[15:18], v30 offset1:104
	ds_read2_b64 v[19:22], v2 offset0:80 offset1:184
	v_lshlrev_b32_sdwa v40, v5, v6 dst_sel:DWORD dst_unused:UNUSED_PAD src0_sel:DWORD src1_sel:WORD_0
	v_add_co_u32 v35, s0, s8, v0
	v_add_co_ci_u32_e64 v36, s0, s9, v1, s0
	s_waitcnt vmcnt(0) lgkmcnt(0)
	s_barrier
	buffer_gl0_inv
	v_mul_f32_e32 v6, v29, v8
	v_mul_f32_e32 v29, v29, v7
	;; [unrolled: 1-line block ×8, first 2 shown]
	v_fma_f32 v6, v28, v7, -v6
	v_fmac_f32_e32 v29, v28, v8
	v_fma_f32 v8, v31, v9, -v43
	v_fmac_f32_e32 v32, v31, v10
	;; [unrolled: 2-line block ×4, first 2 shown]
	v_sub_f32_e32 v6, v15, v6
	v_sub_f32_e32 v7, v16, v29
	;; [unrolled: 1-line block ×8, first 2 shown]
	v_fma_f32 v14, v15, 2.0, -v6
	v_fma_f32 v15, v16, 2.0, -v7
	;; [unrolled: 1-line block ×8, first 2 shown]
	ds_write2_b64 v25, v[14:15], v[6:7] offset1:52
	ds_write2_b64 v42, v[16:17], v[8:9] offset1:52
	;; [unrolled: 1-line block ×4, first 2 shown]
	v_lshlrev_b32_sdwa v13, v5, v39 dst_sel:DWORD dst_unused:UNUSED_PAD src0_sel:DWORD src1_sel:WORD_0
	s_waitcnt lgkmcnt(0)
	s_barrier
	buffer_gl0_inv
	s_clause 0x2
	global_load_dwordx2 v[21:22], v[35:36], off offset:728
	global_load_dwordx2 v[28:29], v40, s[8:9] offset:728
	global_load_dwordx2 v[31:32], v13, s[8:9] offset:728
	ds_read2_b64 v[5:8], v4 offset0:32 offset1:136
	ds_read2_b64 v[9:12], v3 offset0:112 offset1:216
	v_add_nc_u32_e32 v14, 0, v40
	v_add_nc_u32_e32 v13, 0, v13
	v_add_co_u32 v33, s0, 0x800, v35
	v_add_co_ci_u32_e64 v34, s0, 0, v36, s0
	v_add_nc_u32_e32 v23, 0xc00, v14
	v_add_nc_u32_e32 v25, 0x1000, v13
	ds_read2_b64 v[13:16], v30 offset1:104
	ds_read2_b64 v[17:20], v2 offset0:80 offset1:184
	s_waitcnt vmcnt(0) lgkmcnt(0)
	s_barrier
	buffer_gl0_inv
	v_mul_f32_e32 v37, v22, v6
	v_mul_f32_e32 v38, v22, v5
	v_mul_f32_e32 v39, v22, v8
	v_mul_f32_e32 v22, v22, v7
	v_mul_f32_e32 v40, v29, v10
	v_mul_f32_e32 v29, v29, v9
	v_mul_f32_e32 v41, v32, v12
	v_mul_f32_e32 v32, v32, v11
	v_fma_f32 v5, v21, v5, -v37
	v_fmac_f32_e32 v38, v21, v6
	v_fma_f32 v7, v21, v7, -v39
	v_fmac_f32_e32 v22, v21, v8
	;; [unrolled: 2-line block ×4, first 2 shown]
	v_sub_f32_e32 v5, v13, v5
	v_sub_f32_e32 v6, v14, v38
	;; [unrolled: 1-line block ×8, first 2 shown]
	v_fma_f32 v13, v13, 2.0, -v5
	v_fma_f32 v14, v14, 2.0, -v6
	;; [unrolled: 1-line block ×8, first 2 shown]
	ds_write2_b64 v30, v[13:14], v[5:6] offset1:104
	ds_write2_b64 v2, v[15:16], v[7:8] offset0:80 offset1:184
	ds_write2_b64 v23, v[17:18], v[9:10] offset0:32 offset1:136
	ds_write2_b64 v25, v[19:20], v[11:12] offset0:112 offset1:216
	s_waitcnt lgkmcnt(0)
	s_barrier
	buffer_gl0_inv
	s_clause 0x1
	global_load_dwordx2 v[21:22], v[35:36], off offset:1560
	global_load_dwordx2 v[28:29], v[33:34], off offset:344
	ds_read2_b64 v[5:8], v4 offset0:32 offset1:136
	ds_read2_b64 v[9:12], v3 offset0:112 offset1:216
	ds_read2_b64 v[13:16], v30 offset1:104
	ds_read2_b64 v[17:20], v2 offset0:80 offset1:184
	v_add_co_u32 v31, s0, 0x1000, v35
	v_add_co_ci_u32_e64 v32, s0, 0, v36, s0
	s_waitcnt vmcnt(0) lgkmcnt(0)
	s_barrier
	buffer_gl0_inv
	v_mul_f32_e32 v23, v22, v6
	v_mul_f32_e32 v25, v22, v5
	;; [unrolled: 1-line block ×8, first 2 shown]
	v_fma_f32 v5, v21, v5, -v23
	v_fmac_f32_e32 v25, v21, v6
	v_fma_f32 v7, v28, v7, -v35
	v_fmac_f32_e32 v36, v28, v8
	;; [unrolled: 2-line block ×4, first 2 shown]
	v_sub_f32_e32 v5, v13, v5
	v_sub_f32_e32 v6, v14, v25
	;; [unrolled: 1-line block ×8, first 2 shown]
	v_fma_f32 v13, v13, 2.0, -v5
	v_fma_f32 v14, v14, 2.0, -v6
	;; [unrolled: 1-line block ×8, first 2 shown]
	ds_write2_b64 v2, v[5:6], v[7:8] offset0:80 offset1:184
	ds_write2_b64 v3, v[9:10], v[11:12] offset0:112 offset1:216
	ds_write2_b64 v30, v[13:14], v[15:16] offset1:104
	ds_write2_b64 v4, v[17:18], v[19:20] offset0:32 offset1:136
	s_waitcnt lgkmcnt(0)
	s_barrier
	buffer_gl0_inv
	s_clause 0x3
	global_load_dwordx2 v[21:22], v[33:34], off offset:1176
	global_load_dwordx2 v[28:29], v[33:34], off offset:2008
	;; [unrolled: 1-line block ×4, first 2 shown]
	ds_read2_b64 v[5:8], v4 offset0:32 offset1:136
	ds_read2_b64 v[9:12], v3 offset0:112 offset1:216
	ds_read2_b64 v[13:16], v30 offset1:104
	ds_read2_b64 v[17:20], v2 offset0:80 offset1:184
	s_waitcnt vmcnt(0) lgkmcnt(0)
	s_barrier
	buffer_gl0_inv
	v_mul_f32_e32 v23, v22, v6
	v_mul_f32_e32 v22, v22, v5
	v_mul_f32_e32 v25, v29, v8
	v_mul_f32_e32 v29, v29, v7
	v_mul_f32_e32 v35, v34, v10
	v_mul_f32_e32 v34, v34, v9
	v_mul_f32_e32 v36, v32, v12
	v_mul_f32_e32 v32, v32, v11
	v_fma_f32 v5, v21, v5, -v23
	v_fmac_f32_e32 v22, v21, v6
	v_fma_f32 v7, v28, v7, -v25
	v_fmac_f32_e32 v29, v28, v8
	;; [unrolled: 2-line block ×4, first 2 shown]
	v_sub_f32_e32 v5, v13, v5
	v_sub_f32_e32 v6, v14, v22
	;; [unrolled: 1-line block ×8, first 2 shown]
	v_fma_f32 v13, v13, 2.0, -v5
	v_fma_f32 v14, v14, 2.0, -v6
	;; [unrolled: 1-line block ×8, first 2 shown]
	ds_write2_b64 v4, v[5:6], v[7:8] offset0:32 offset1:136
	ds_write2_b64 v3, v[9:10], v[11:12] offset0:112 offset1:216
	ds_write2_b64 v30, v[13:14], v[15:16] offset1:104
	ds_write2_b64 v2, v[17:18], v[19:20] offset0:80 offset1:184
	s_waitcnt lgkmcnt(0)
	s_barrier
	buffer_gl0_inv
	ds_read_b64 v[4:5], v30
	v_lshlrev_b32_e32 v2, 3, v24
                                        ; implicit-def: $vgpr7
                                        ; implicit-def: $vgpr8
	v_sub_nc_u32_e32 v6, 0, v2
                                        ; implicit-def: $vgpr2
	v_cmpx_ne_u32_e32 0, v24
	s_xor_b32 s5, exec_lo, s5
	s_cbranch_execz .LBB0_15
; %bb.14:
	v_add_co_u32 v2, s0, s1, v0
	v_add_co_ci_u32_e64 v3, s0, s4, v1, s0
	global_load_dwordx2 v[9:10], v[2:3], off
	ds_read_b64 v[2:3], v6 offset:6656
	s_waitcnt lgkmcnt(0)
	v_sub_f32_e32 v7, v4, v2
	v_add_f32_e32 v8, v3, v5
	v_sub_f32_e32 v3, v5, v3
	v_add_f32_e32 v2, v2, v4
	v_mul_f32_e32 v5, 0.5, v7
	v_mul_f32_e32 v4, 0.5, v8
	;; [unrolled: 1-line block ×3, first 2 shown]
	s_waitcnt vmcnt(0)
	v_mul_f32_e32 v8, v10, v5
	v_fma_f32 v11, v4, v10, v3
	v_fma_f32 v3, v4, v10, -v3
	v_fma_f32 v7, 0.5, v2, v8
	v_fma_f32 v2, v2, 0.5, -v8
	v_fma_f32 v8, -v9, v5, v11
	v_fma_f32 v3, -v9, v5, v3
	v_fmac_f32_e32 v7, v9, v4
	v_fma_f32 v2, -v9, v4, v2
                                        ; implicit-def: $vgpr4_vgpr5
.LBB0_15:
	s_andn2_saveexec_b32 s0, s5
	s_cbranch_execz .LBB0_17
; %bb.16:
	v_mov_b32_e32 v8, 0
	s_waitcnt lgkmcnt(0)
	v_add_f32_e32 v7, v4, v5
	v_sub_f32_e32 v2, v4, v5
	ds_read_b32 v3, v8 offset:3332
	s_waitcnt lgkmcnt(0)
	v_xor_b32_e32 v4, 0x80000000, v3
	v_mov_b32_e32 v3, 0
	ds_write_b32 v8, v4 offset:3332
.LBB0_17:
	s_or_b32 exec_lo, exec_lo, s0
	s_waitcnt lgkmcnt(0)
	v_add_co_u32 v4, s0, s1, v0
	v_add_co_ci_u32_e64 v5, s0, s4, v1, s0
	s_clause 0x1
	global_load_dwordx2 v[9:10], v[4:5], off offset:832
	global_load_dwordx2 v[11:12], v[4:5], off offset:1664
	v_add_co_u32 v4, s0, 0x800, v4
	v_add_co_ci_u32_e64 v5, s0, 0, v5, s0
	global_load_dwordx2 v[4:5], v[4:5], off offset:448
	ds_write2_b32 v30, v7, v8 offset1:1
	ds_write_b64 v6, v[2:3] offset:6656
	ds_read_b64 v[2:3], v30 offset:832
	ds_read_b64 v[7:8], v6 offset:5824
	s_waitcnt lgkmcnt(0)
	v_sub_f32_e32 v13, v2, v7
	v_add_f32_e32 v14, v3, v8
	v_sub_f32_e32 v3, v3, v8
	v_add_f32_e32 v2, v2, v7
	v_mul_f32_e32 v8, 0.5, v13
	v_mul_f32_e32 v13, 0.5, v14
	;; [unrolled: 1-line block ×3, first 2 shown]
	s_waitcnt vmcnt(2)
	v_mul_f32_e32 v7, v10, v8
	v_fma_f32 v14, v13, v10, v3
	v_fma_f32 v3, v13, v10, -v3
	v_fma_f32 v10, 0.5, v2, v7
	v_fma_f32 v2, v2, 0.5, -v7
	v_fma_f32 v7, -v9, v8, v14
	v_fma_f32 v3, -v9, v8, v3
	v_fmac_f32_e32 v10, v9, v13
	v_fma_f32 v2, -v9, v13, v2
	ds_write2_b32 v30, v10, v7 offset0:208 offset1:209
	ds_write_b64 v6, v[2:3] offset:5824
	ds_read_b64 v[2:3], v30 offset:1664
	ds_read_b64 v[7:8], v6 offset:4992
	s_waitcnt lgkmcnt(0)
	v_sub_f32_e32 v9, v2, v7
	v_add_f32_e32 v10, v3, v8
	v_sub_f32_e32 v3, v3, v8
	v_add_f32_e32 v2, v2, v7
	v_mul_f32_e32 v8, 0.5, v9
	v_mul_f32_e32 v9, 0.5, v10
	;; [unrolled: 1-line block ×3, first 2 shown]
	s_waitcnt vmcnt(1)
	v_mul_f32_e32 v7, v12, v8
	v_fma_f32 v10, v9, v12, v3
	v_fma_f32 v3, v9, v12, -v3
	v_fma_f32 v12, 0.5, v2, v7
	v_fma_f32 v7, v2, 0.5, -v7
	v_add_nc_u32_e32 v2, 0x400, v30
	v_fma_f32 v10, -v11, v8, v10
	v_fma_f32 v8, -v11, v8, v3
	v_fmac_f32_e32 v12, v11, v9
	v_fma_f32 v7, -v11, v9, v7
	ds_write2_b32 v2, v12, v10 offset0:160 offset1:161
	ds_write_b64 v6, v[7:8] offset:4992
	ds_read_b64 v[7:8], v30 offset:2496
	ds_read_b64 v[9:10], v6 offset:4160
	s_waitcnt lgkmcnt(0)
	v_sub_f32_e32 v3, v7, v9
	v_add_f32_e32 v11, v8, v10
	v_sub_f32_e32 v8, v8, v10
	v_add_f32_e32 v7, v7, v9
	v_mul_f32_e32 v3, 0.5, v3
	v_mul_f32_e32 v10, 0.5, v11
	;; [unrolled: 1-line block ×3, first 2 shown]
	s_waitcnt vmcnt(0)
	v_mul_f32_e32 v9, v5, v3
	v_fma_f32 v11, v10, v5, v8
	v_fma_f32 v5, v10, v5, -v8
	v_fma_f32 v8, 0.5, v7, v9
	v_fma_f32 v7, v7, 0.5, -v9
	v_add_nc_u32_e32 v9, 0x800, v30
	v_fma_f32 v11, -v4, v3, v11
	v_fma_f32 v5, -v4, v3, v5
	v_fmac_f32_e32 v8, v4, v10
	v_fma_f32 v4, -v4, v10, v7
	ds_write2_b32 v9, v8, v11 offset0:112 offset1:113
	ds_write_b64 v6, v[4:5] offset:4160
	s_waitcnt lgkmcnt(0)
	s_barrier
	buffer_gl0_inv
	s_and_saveexec_b32 s0, vcc_lo
	s_cbranch_execz .LBB0_20
; %bb.18:
	ds_read2_b64 v[4:7], v30 offset1:104
	ds_read2_b64 v[8:11], v2 offset0:80 offset1:184
	v_add_nc_u32_e32 v12, 0xc00, v30
	v_add_nc_u32_e32 v16, 0x1000, v30
	v_add_co_u32 v2, vcc_lo, s2, v26
	ds_read2_b64 v[12:15], v12 offset0:32 offset1:136
	ds_read2_b64 v[16:19], v16 offset0:112 offset1:216
	v_add_co_ci_u32_e32 v3, vcc_lo, s3, v27, vcc_lo
	v_add_co_u32 v0, vcc_lo, v2, v0
	v_add_co_ci_u32_e32 v1, vcc_lo, v3, v1, vcc_lo
	v_add_co_u32 v20, vcc_lo, 0x800, v0
	s_waitcnt lgkmcnt(3)
	global_store_dwordx2 v[0:1], v[4:5], off
	global_store_dwordx2 v[0:1], v[6:7], off offset:832
	v_add_co_ci_u32_e32 v21, vcc_lo, 0, v1, vcc_lo
	v_add_co_u32 v4, vcc_lo, 0x1000, v0
	v_add_co_ci_u32_e32 v5, vcc_lo, 0, v1, vcc_lo
	v_cmp_eq_u32_e32 vcc_lo, 0x67, v24
	s_waitcnt lgkmcnt(2)
	global_store_dwordx2 v[0:1], v[8:9], off offset:1664
	global_store_dwordx2 v[20:21], v[10:11], off offset:448
	s_waitcnt lgkmcnt(1)
	global_store_dwordx2 v[20:21], v[12:13], off offset:1280
	global_store_dwordx2 v[4:5], v[14:15], off offset:64
	;; [unrolled: 3-line block ×3, first 2 shown]
	s_and_b32 exec_lo, exec_lo, vcc_lo
	s_cbranch_execz .LBB0_20
; %bb.19:
	v_mov_b32_e32 v0, 0
	v_add_co_u32 v2, vcc_lo, 0x1800, v2
	v_add_co_ci_u32_e32 v3, vcc_lo, 0, v3, vcc_lo
	ds_read_b64 v[0:1], v0 offset:6656
	s_waitcnt lgkmcnt(0)
	global_store_dwordx2 v[2:3], v[0:1], off offset:512
.LBB0_20:
	s_endpgm
	.section	.rodata,"a",@progbits
	.p2align	6, 0x0
	.amdhsa_kernel fft_rtc_fwd_len832_factors_13_2_2_2_2_2_2_wgs_104_tpt_104_halfLds_sp_ip_CI_unitstride_sbrr_R2C_dirReg
		.amdhsa_group_segment_fixed_size 0
		.amdhsa_private_segment_fixed_size 0
		.amdhsa_kernarg_size 88
		.amdhsa_user_sgpr_count 6
		.amdhsa_user_sgpr_private_segment_buffer 1
		.amdhsa_user_sgpr_dispatch_ptr 0
		.amdhsa_user_sgpr_queue_ptr 0
		.amdhsa_user_sgpr_kernarg_segment_ptr 1
		.amdhsa_user_sgpr_dispatch_id 0
		.amdhsa_user_sgpr_flat_scratch_init 0
		.amdhsa_user_sgpr_private_segment_size 0
		.amdhsa_wavefront_size32 1
		.amdhsa_uses_dynamic_stack 0
		.amdhsa_system_sgpr_private_segment_wavefront_offset 0
		.amdhsa_system_sgpr_workgroup_id_x 1
		.amdhsa_system_sgpr_workgroup_id_y 0
		.amdhsa_system_sgpr_workgroup_id_z 0
		.amdhsa_system_sgpr_workgroup_info 0
		.amdhsa_system_vgpr_workitem_id 0
		.amdhsa_next_free_vgpr 106
		.amdhsa_next_free_sgpr 21
		.amdhsa_reserve_vcc 1
		.amdhsa_reserve_flat_scratch 0
		.amdhsa_float_round_mode_32 0
		.amdhsa_float_round_mode_16_64 0
		.amdhsa_float_denorm_mode_32 3
		.amdhsa_float_denorm_mode_16_64 3
		.amdhsa_dx10_clamp 1
		.amdhsa_ieee_mode 1
		.amdhsa_fp16_overflow 0
		.amdhsa_workgroup_processor_mode 1
		.amdhsa_memory_ordered 1
		.amdhsa_forward_progress 0
		.amdhsa_shared_vgpr_count 0
		.amdhsa_exception_fp_ieee_invalid_op 0
		.amdhsa_exception_fp_denorm_src 0
		.amdhsa_exception_fp_ieee_div_zero 0
		.amdhsa_exception_fp_ieee_overflow 0
		.amdhsa_exception_fp_ieee_underflow 0
		.amdhsa_exception_fp_ieee_inexact 0
		.amdhsa_exception_int_div_zero 0
	.end_amdhsa_kernel
	.text
.Lfunc_end0:
	.size	fft_rtc_fwd_len832_factors_13_2_2_2_2_2_2_wgs_104_tpt_104_halfLds_sp_ip_CI_unitstride_sbrr_R2C_dirReg, .Lfunc_end0-fft_rtc_fwd_len832_factors_13_2_2_2_2_2_2_wgs_104_tpt_104_halfLds_sp_ip_CI_unitstride_sbrr_R2C_dirReg
                                        ; -- End function
	.section	.AMDGPU.csdata,"",@progbits
; Kernel info:
; codeLenInByte = 8064
; NumSgprs: 23
; NumVgprs: 106
; ScratchSize: 0
; MemoryBound: 0
; FloatMode: 240
; IeeeMode: 1
; LDSByteSize: 0 bytes/workgroup (compile time only)
; SGPRBlocks: 2
; VGPRBlocks: 13
; NumSGPRsForWavesPerEU: 23
; NumVGPRsForWavesPerEU: 106
; Occupancy: 9
; WaveLimiterHint : 1
; COMPUTE_PGM_RSRC2:SCRATCH_EN: 0
; COMPUTE_PGM_RSRC2:USER_SGPR: 6
; COMPUTE_PGM_RSRC2:TRAP_HANDLER: 0
; COMPUTE_PGM_RSRC2:TGID_X_EN: 1
; COMPUTE_PGM_RSRC2:TGID_Y_EN: 0
; COMPUTE_PGM_RSRC2:TGID_Z_EN: 0
; COMPUTE_PGM_RSRC2:TIDIG_COMP_CNT: 0
	.text
	.p2alignl 6, 3214868480
	.fill 48, 4, 3214868480
	.type	__hip_cuid_63ea7d707d58c294,@object ; @__hip_cuid_63ea7d707d58c294
	.section	.bss,"aw",@nobits
	.globl	__hip_cuid_63ea7d707d58c294
__hip_cuid_63ea7d707d58c294:
	.byte	0                               ; 0x0
	.size	__hip_cuid_63ea7d707d58c294, 1

	.ident	"AMD clang version 19.0.0git (https://github.com/RadeonOpenCompute/llvm-project roc-6.4.0 25133 c7fe45cf4b819c5991fe208aaa96edf142730f1d)"
	.section	".note.GNU-stack","",@progbits
	.addrsig
	.addrsig_sym __hip_cuid_63ea7d707d58c294
	.amdgpu_metadata
---
amdhsa.kernels:
  - .args:
      - .actual_access:  read_only
        .address_space:  global
        .offset:         0
        .size:           8
        .value_kind:     global_buffer
      - .offset:         8
        .size:           8
        .value_kind:     by_value
      - .actual_access:  read_only
        .address_space:  global
        .offset:         16
        .size:           8
        .value_kind:     global_buffer
      - .actual_access:  read_only
        .address_space:  global
        .offset:         24
        .size:           8
        .value_kind:     global_buffer
      - .offset:         32
        .size:           8
        .value_kind:     by_value
      - .actual_access:  read_only
        .address_space:  global
        .offset:         40
        .size:           8
        .value_kind:     global_buffer
      - .actual_access:  read_only
        .address_space:  global
        .offset:         48
        .size:           8
        .value_kind:     global_buffer
      - .offset:         56
        .size:           4
        .value_kind:     by_value
      - .actual_access:  read_only
        .address_space:  global
        .offset:         64
        .size:           8
        .value_kind:     global_buffer
      - .actual_access:  read_only
        .address_space:  global
        .offset:         72
        .size:           8
        .value_kind:     global_buffer
      - .address_space:  global
        .offset:         80
        .size:           8
        .value_kind:     global_buffer
    .group_segment_fixed_size: 0
    .kernarg_segment_align: 8
    .kernarg_segment_size: 88
    .language:       OpenCL C
    .language_version:
      - 2
      - 0
    .max_flat_workgroup_size: 104
    .name:           fft_rtc_fwd_len832_factors_13_2_2_2_2_2_2_wgs_104_tpt_104_halfLds_sp_ip_CI_unitstride_sbrr_R2C_dirReg
    .private_segment_fixed_size: 0
    .sgpr_count:     23
    .sgpr_spill_count: 0
    .symbol:         fft_rtc_fwd_len832_factors_13_2_2_2_2_2_2_wgs_104_tpt_104_halfLds_sp_ip_CI_unitstride_sbrr_R2C_dirReg.kd
    .uniform_work_group_size: 1
    .uses_dynamic_stack: false
    .vgpr_count:     106
    .vgpr_spill_count: 0
    .wavefront_size: 32
    .workgroup_processor_mode: 1
amdhsa.target:   amdgcn-amd-amdhsa--gfx1030
amdhsa.version:
  - 1
  - 2
...

	.end_amdgpu_metadata
